;; amdgpu-corpus repo=zjin-lcf/HeCBench kind=compiled arch=gfx1250 opt=O3
	.amdgcn_target "amdgcn-amd-amdhsa--gfx1250"
	.amdhsa_code_object_version 6
	.text
	.protected	_Z15winograd_conv2dPKfS0_Pfii ; -- Begin function _Z15winograd_conv2dPKfS0_Pfii
	.globl	_Z15winograd_conv2dPKfS0_Pfii
	.p2align	8
	.type	_Z15winograd_conv2dPKfS0_Pfii,@function
_Z15winograd_conv2dPKfS0_Pfii:          ; @_Z15winograd_conv2dPKfS0_Pfii
; %bb.0:
	s_clause 0x2
	s_load_b32 s6, s[0:1], 0x2c
	s_load_b64 s[4:5], s[0:1], 0x0
	s_load_b64 s[2:3], s[0:1], 0x18
	s_bfe_u32 s8, ttmp6, 0x4000c
	s_bfe_u32 s9, ttmp6, 0x40010
	s_add_co_i32 s8, s8, 1
	s_add_co_i32 s9, s9, 1
	s_and_b32 s7, ttmp6, 15
	s_bfe_u32 s10, ttmp6, 0x40004
	s_mul_i32 s8, ttmp9, s8
	s_mul_i32 s9, ttmp7, s9
	s_getreg_b32 s11, hwreg(HW_REG_IB_STS2, 6, 4)
	s_add_co_i32 s7, s7, s8
	s_add_co_i32 s10, s10, s9
	v_and_b32_e32 v1, 0x3ff, v0
	v_bfe_u32 v0, v0, 10, 10
	v_dual_mov_b32 v13, 0 :: v_dual_mov_b32 v6, 0
	s_wait_kmcnt 0x0
	s_lshr_b32 s8, s6, 16
	s_and_b32 s6, s6, 0xffff
	s_cmp_eq_u32 s11, 0
	s_cselect_b32 s9, ttmp7, s10
	s_cselect_b32 s7, ttmp9, s7
	s_mul_i32 s9, s9, s8
	s_mul_i32 s7, s7, s6
	v_add3_u32 v4, s9, s3, v0
	v_add3_u32 v9, s7, s2, v1
	s_delay_alu instid0(VALU_DEP_2) | instskip(NEXT) | instid1(VALU_DEP_2)
	v_cmp_lt_i32_e32 vcc_lo, 0x1ff, v4
	v_cmp_lt_i32_e64 s3, 0x1ff, v9
	v_dual_lshlrev_b32 v0, 1, v4 :: v_dual_lshlrev_b32 v2, 11, v9
	s_nor_b32 s6, s3, vcc_lo
	s_delay_alu instid0(SALU_CYCLE_1)
	s_and_saveexec_b32 s2, s6
	s_cbranch_execz .LBB0_2
; %bb.1:
	s_delay_alu instid0(VALU_DEP_1)
	v_add_nc_u32_e32 v1, v0, v2
	global_load_b32 v6, v1, s[4:5] scale_offset
.LBB0_2:
	s_wait_xcnt 0x0
	s_or_b32 exec_lo, exec_lo, s2
	v_dual_ashrrev_i32 v3, 31, v2 :: v_dual_ashrrev_i32 v1, 31, v0
	s_and_saveexec_b32 s2, s6
	s_cbranch_execz .LBB0_4
; %bb.3:
	s_delay_alu instid0(VALU_DEP_1) | instskip(NEXT) | instid1(VALU_DEP_1)
	v_add_nc_u64_e32 v[10:11], v[0:1], v[2:3]
	v_lshl_add_u64 v[10:11], v[10:11], 2, s[4:5]
	global_load_b32 v13, v[10:11], off offset:4
.LBB0_4:
	s_wait_xcnt 0x0
	s_or_b32 exec_lo, exec_lo, s2
	v_cmp_lt_i32_e64 s2, 0x1fe, v4
	v_dual_mov_b32 v8, 0 :: v_dual_mov_b32 v15, 0
	s_nor_b32 s3, s3, s2
	s_delay_alu instid0(SALU_CYCLE_1)
	s_and_saveexec_b32 s7, s3
	s_cbranch_execz .LBB0_6
; %bb.5:
	v_add_nc_u64_e32 v[4:5], v[0:1], v[2:3]
	s_delay_alu instid0(VALU_DEP_1)
	v_lshl_add_u64 v[4:5], v[4:5], 2, s[4:5]
	global_load_b32 v15, v[4:5], off offset:8
.LBB0_6:
	s_wait_xcnt 0x0
	s_or_b32 exec_lo, exec_lo, s7
	s_and_saveexec_b32 s7, s3
	s_cbranch_execz .LBB0_8
; %bb.7:
	v_add_nc_u64_e32 v[4:5], v[0:1], v[2:3]
	s_delay_alu instid0(VALU_DEP_1)
	v_lshl_add_u64 v[4:5], v[4:5], 2, s[4:5]
	global_load_b32 v8, v[4:5], off offset:12
.LBB0_8:
	s_wait_xcnt 0x0
	s_or_b32 exec_lo, exec_lo, s7
	v_lshl_or_b32 v10, v9, 1, 1
	v_dual_mov_b32 v12, 0 :: v_dual_mov_b32 v7, 0
	s_delay_alu instid0(VALU_DEP_2)
	v_lshlrev_b32_e32 v4, 10, v10
	s_and_saveexec_b32 s7, s6
	s_cbranch_execz .LBB0_10
; %bb.9:
	s_delay_alu instid0(VALU_DEP_1)
	v_add_nc_u32_e32 v3, v0, v4
	global_load_b32 v7, v3, s[4:5] scale_offset
.LBB0_10:
	s_wait_xcnt 0x0
	s_or_b32 exec_lo, exec_lo, s7
	v_ashrrev_i32_e32 v5, 31, v4
	s_and_saveexec_b32 s7, s6
	s_cbranch_execz .LBB0_12
; %bb.11:
	s_delay_alu instid0(VALU_DEP_1) | instskip(NEXT) | instid1(VALU_DEP_1)
	v_add_nc_u64_e32 v[16:17], v[0:1], v[4:5]
	v_lshl_add_u64 v[16:17], v[16:17], 2, s[4:5]
	global_load_b32 v12, v[16:17], off offset:4
.LBB0_12:
	s_wait_xcnt 0x0
	s_or_b32 exec_lo, exec_lo, s7
	v_dual_mov_b32 v11, 0 :: v_dual_mov_b32 v14, 0
	s_and_saveexec_b32 s6, s3
	s_cbranch_execz .LBB0_14
; %bb.13:
	v_add_nc_u64_e32 v[16:17], v[0:1], v[4:5]
	s_delay_alu instid0(VALU_DEP_1)
	v_lshl_add_u64 v[16:17], v[16:17], 2, s[4:5]
	global_load_b32 v14, v[16:17], off offset:8
.LBB0_14:
	s_wait_xcnt 0x0
	s_or_b32 exec_lo, exec_lo, s6
	s_and_saveexec_b32 s6, s3
	s_cbranch_execz .LBB0_16
; %bb.15:
	v_add_nc_u64_e32 v[4:5], v[0:1], v[4:5]
	s_delay_alu instid0(VALU_DEP_1)
	v_lshl_add_u64 v[4:5], v[4:5], 2, s[4:5]
	global_load_b32 v11, v[4:5], off offset:12
.LBB0_16:
	s_wait_xcnt 0x0
	s_or_b32 exec_lo, exec_lo, s6
	v_cmp_lt_i32_e64 s3, 0x1fe, v9
	v_dual_mov_b32 v19, 0 :: v_dual_add_nc_u32 v4, 0x800, v2
	v_mov_b32_e32 v16, 0
	s_nor_b32 s6, s3, vcc_lo
	s_delay_alu instid0(SALU_CYCLE_1)
	s_and_saveexec_b32 s7, s6
	s_cbranch_execz .LBB0_18
; %bb.17:
	v_add_nc_u32_e32 v3, v0, v4
	global_load_b32 v16, v3, s[4:5] scale_offset
.LBB0_18:
	s_wait_xcnt 0x0
	s_or_b32 exec_lo, exec_lo, s7
	v_ashrrev_i32_e32 v5, 31, v4
	s_and_saveexec_b32 s7, s6
	s_cbranch_execz .LBB0_20
; %bb.19:
	s_delay_alu instid0(VALU_DEP_1) | instskip(NEXT) | instid1(VALU_DEP_1)
	v_add_nc_u64_e32 v[18:19], v[0:1], v[4:5]
	v_lshl_add_u64 v[18:19], v[18:19], 2, s[4:5]
	global_load_b32 v19, v[18:19], off offset:4
.LBB0_20:
	s_wait_xcnt 0x0
	s_or_b32 exec_lo, exec_lo, s7
	v_dual_mov_b32 v17, 0 :: v_dual_mov_b32 v21, 0
	s_nor_b32 s15, s3, s2
	s_delay_alu instid0(SALU_CYCLE_1)
	s_and_saveexec_b32 s2, s15
	s_cbranch_execz .LBB0_22
; %bb.21:
	v_add_nc_u64_e32 v[20:21], v[0:1], v[4:5]
	s_delay_alu instid0(VALU_DEP_1)
	v_lshl_add_u64 v[20:21], v[20:21], 2, s[4:5]
	global_load_b32 v21, v[20:21], off offset:8
.LBB0_22:
	s_wait_xcnt 0x0
	s_or_b32 exec_lo, exec_lo, s2
	s_and_saveexec_b32 s2, s15
	s_cbranch_execz .LBB0_24
; %bb.23:
	v_add_nc_u64_e32 v[4:5], v[0:1], v[4:5]
	s_delay_alu instid0(VALU_DEP_1)
	v_lshl_add_u64 v[4:5], v[4:5], 2, s[4:5]
	global_load_b32 v17, v[4:5], off offset:12
.LBB0_24:
	s_wait_xcnt 0x0
	s_or_b32 exec_lo, exec_lo, s2
	v_add_nc_u32_e32 v2, 0xc00, v2
	v_dual_mov_b32 v18, 0 :: v_dual_mov_b32 v4, 0
	s_and_saveexec_b32 s2, s6
	s_cbranch_execz .LBB0_26
; %bb.25:
	s_delay_alu instid0(VALU_DEP_2)
	v_add_nc_u32_e32 v3, v0, v2
	global_load_b32 v4, v3, s[4:5] scale_offset
.LBB0_26:
	s_wait_xcnt 0x0
	s_or_b32 exec_lo, exec_lo, s2
	v_ashrrev_i32_e32 v3, 31, v2
	s_and_saveexec_b32 s2, s6
	s_cbranch_execz .LBB0_28
; %bb.27:
	s_delay_alu instid0(VALU_DEP_1) | instskip(NEXT) | instid1(VALU_DEP_1)
	v_add_nc_u64_e32 v[22:23], v[0:1], v[2:3]
	v_lshl_add_u64 v[22:23], v[22:23], 2, s[4:5]
	global_load_b32 v18, v[22:23], off offset:4
.LBB0_28:
	s_wait_xcnt 0x0
	s_or_b32 exec_lo, exec_lo, s2
	s_load_b64 s[18:19], s[0:1], 0x8
	v_dual_mov_b32 v5, 0 :: v_dual_mov_b32 v20, 0
	s_and_saveexec_b32 s2, s15
	s_cbranch_execz .LBB0_30
; %bb.29:
	v_add_nc_u64_e32 v[22:23], v[0:1], v[2:3]
	s_delay_alu instid0(VALU_DEP_1)
	v_lshl_add_u64 v[22:23], v[22:23], 2, s[4:5]
	global_load_b32 v20, v[22:23], off offset:8
.LBB0_30:
	s_wait_xcnt 0x0
	s_or_b32 exec_lo, exec_lo, s2
	s_load_b64 s[16:17], s[0:1], 0x10
	s_wait_xcnt 0x0
	s_and_saveexec_b32 s0, s15
	s_cbranch_execz .LBB0_32
; %bb.31:
	v_add_nc_u64_e32 v[2:3], v[0:1], v[2:3]
	s_delay_alu instid0(VALU_DEP_1)
	v_lshl_add_u64 v[2:3], v[2:3], 2, s[4:5]
	global_load_b32 v5, v[2:3], off offset:12
.LBB0_32:
	s_wait_xcnt 0x0
	s_or_b32 exec_lo, exec_lo, s0
	s_wait_kmcnt 0x0
	s_load_b256 s[0:7], s[18:19], 0x4
	s_wait_loadcnt 0x0
	v_dual_sub_f32 v3, v13, v19 :: v_dual_add_f32 v22, v19, v12
	v_dual_sub_f32 v23, v19, v12 :: v_dual_add_f32 v13, v21, v14
	s_clause 0x1
	s_load_b128 s[8:11], s[18:19], 0x24
	s_load_b96 s[12:14], s[18:19], 0x34
	v_dual_add_f32 v24, v16, v7 :: v_dual_sub_f32 v26, v16, v7
	v_dual_sub_f32 v25, v15, v21 :: v_dual_sub_f32 v21, v21, v14
	v_mul_lo_u32 v2, 0x7fc, v9
	v_dual_add_f32 v9, v22, v13 :: v_dual_sub_f32 v15, v13, v22
	s_delay_alu instid0(VALU_DEP_3) | instskip(SKIP_4) | instid1(VALU_DEP_3)
	v_dual_add_f32 v28, v3, v25 :: v_dual_sub_f32 v29, v25, v3
	v_sub_f32_e32 v13, v24, v13
	v_dual_sub_f32 v30, v26, v21 :: v_dual_add_f32 v26, v23, v21
	s_wait_kmcnt 0x0
	v_dual_sub_f32 v27, v21, v23 :: v_dual_mul_f32 v19, s4, v9
	v_dual_mul_f32 v15, s5, v15 :: v_dual_mul_f32 v9, s3, v13
	s_delay_alu instid0(VALU_DEP_2) | instskip(NEXT) | instid1(VALU_DEP_1)
	v_dual_mul_f32 v13, s7, v30 :: v_dual_fma_f32 v21, s0, v28, v19
	v_dual_fma_f32 v24, s1, v29, v15 :: v_dual_fmac_f32 v21, s8, v26
	s_delay_alu instid0(VALU_DEP_1)
	v_fmac_f32_e32 v24, s9, v27
	s_and_saveexec_b32 s0, s15
	s_cbranch_execz .LBB0_34
; %bb.33:
	s_load_b32 s1, s[18:19], 0x0
	v_dual_sub_f32 v6, v6, v16 :: v_dual_add_nc_u32 v16, v0, v2
	s_delay_alu instid0(VALU_DEP_1) | instskip(SKIP_1) | instid1(VALU_DEP_1)
	v_sub_f32_e32 v6, v6, v25
	s_wait_kmcnt 0x0
	v_fma_f32 v6, s1, v6, v9
	s_delay_alu instid0(VALU_DEP_1) | instskip(NEXT) | instid1(VALU_DEP_1)
	v_add_f32_e32 v6, v6, v13
	v_add_f32_e32 v6, v6, v21
	s_delay_alu instid0(VALU_DEP_1)
	v_add_f32_e32 v6, v24, v6
	global_store_b32 v16, v6, s[16:17] scale_offset
.LBB0_34:
	s_wait_xcnt 0x0
	s_or_b32 exec_lo, exec_lo, s0
	v_dual_add_f32 v6, v17, v11 :: v_dual_sub_f32 v16, v17, v11
	s_delay_alu instid0(VALU_DEP_1) | instskip(SKIP_1) | instid1(VALU_DEP_2)
	v_dual_sub_f32 v6, v22, v6 :: v_dual_sub_f32 v16, v23, v16
	v_dual_mul_f32 v23, s8, v26 :: v_dual_mul_f32 v22, s9, v27
	v_dual_mul_f32 v6, s6, v6 :: v_dual_mul_f32 v16, s10, v16
	s_and_saveexec_b32 s0, s15
	s_cbranch_execz .LBB0_36
; %bb.35:
	v_dual_sub_f32 v8, v8, v17 :: v_dual_sub_f32 v17, v21, v24
	s_delay_alu instid0(VALU_DEP_1) | instskip(NEXT) | instid1(VALU_DEP_1)
	v_dual_sub_f32 v8, v3, v8 :: v_dual_ashrrev_i32 v3, 31, v2
	v_fma_f32 v8, s2, v8, v6
	s_delay_alu instid0(VALU_DEP_2) | instskip(NEXT) | instid1(VALU_DEP_2)
	v_add_nc_u64_e32 v[2:3], v[0:1], v[2:3]
	v_add_f32_e32 v8, v8, v16
	s_delay_alu instid0(VALU_DEP_2) | instskip(NEXT) | instid1(VALU_DEP_2)
	v_lshl_add_u64 v[2:3], v[2:3], 2, s[16:17]
	v_sub_f32_e32 v8, v17, v8
	global_store_b32 v[2:3], v8, off offset:4
.LBB0_36:
	s_wait_xcnt 0x0
	s_or_b32 exec_lo, exec_lo, s0
	v_dual_sub_f32 v8, v12, v18 :: v_dual_sub_f32 v3, v14, v20
	v_mul_lo_u32 v2, 0x3fe, v10
	v_sub_f32_e32 v12, v19, v23
	s_delay_alu instid0(VALU_DEP_3) | instskip(SKIP_1) | instid1(VALU_DEP_2)
	v_dual_sub_f32 v14, v15, v22 :: v_dual_add_f32 v10, v8, v3
	v_sub_f32_e32 v15, v3, v8
	v_fma_f32 v10, -v10, s12, v12
	s_delay_alu instid0(VALU_DEP_2)
	v_fma_f32 v12, -v15, s13, v14
	s_and_saveexec_b32 s0, s15
	s_cbranch_execnz .LBB0_39
; %bb.37:
	s_or_b32 exec_lo, exec_lo, s0
	s_and_saveexec_b32 s0, s15
	s_cbranch_execnz .LBB0_40
.LBB0_38:
	s_endpgm
.LBB0_39:
	v_dual_sub_f32 v4, v7, v4 :: v_dual_sub_f32 v7, v9, v13
	s_delay_alu instid0(VALU_DEP_1) | instskip(SKIP_1) | instid1(VALU_DEP_2)
	v_sub_f32_e32 v3, v4, v3
	v_add_nc_u32_e32 v4, v0, v2
	v_fma_f32 v3, -v3, s11, v7
	s_delay_alu instid0(VALU_DEP_1) | instskip(NEXT) | instid1(VALU_DEP_1)
	v_add_f32_e32 v3, v3, v10
	v_add_f32_e32 v3, v12, v3
	global_store_b32 v4, v3, s[16:17] scale_offset
	s_wait_xcnt 0x0
	s_or_b32 exec_lo, exec_lo, s0
	s_and_saveexec_b32 s0, s15
	s_cbranch_execz .LBB0_38
.LBB0_40:
	v_dual_sub_f32 v4, v11, v5 :: v_dual_sub_f32 v5, v6, v16
	v_dual_sub_f32 v6, v10, v12 :: v_dual_ashrrev_i32 v3, 31, v2
	s_delay_alu instid0(VALU_DEP_2) | instskip(NEXT) | instid1(VALU_DEP_2)
	v_sub_f32_e32 v4, v8, v4
	v_add_nc_u64_e32 v[0:1], v[0:1], v[2:3]
	s_delay_alu instid0(VALU_DEP_2) | instskip(NEXT) | instid1(VALU_DEP_2)
	v_fma_f32 v2, -v4, s14, v5
	v_lshl_add_u64 v[0:1], v[0:1], 2, s[16:17]
	s_delay_alu instid0(VALU_DEP_2)
	v_sub_f32_e32 v2, v6, v2
	global_store_b32 v[0:1], v2, off offset:4
	s_endpgm
	.section	.rodata,"a",@progbits
	.p2align	6, 0x0
	.amdhsa_kernel _Z15winograd_conv2dPKfS0_Pfii
		.amdhsa_group_segment_fixed_size 0
		.amdhsa_private_segment_fixed_size 0
		.amdhsa_kernarg_size 288
		.amdhsa_user_sgpr_count 2
		.amdhsa_user_sgpr_dispatch_ptr 0
		.amdhsa_user_sgpr_queue_ptr 0
		.amdhsa_user_sgpr_kernarg_segment_ptr 1
		.amdhsa_user_sgpr_dispatch_id 0
		.amdhsa_user_sgpr_kernarg_preload_length 0
		.amdhsa_user_sgpr_kernarg_preload_offset 0
		.amdhsa_user_sgpr_private_segment_size 0
		.amdhsa_wavefront_size32 1
		.amdhsa_uses_dynamic_stack 0
		.amdhsa_enable_private_segment 0
		.amdhsa_system_sgpr_workgroup_id_x 1
		.amdhsa_system_sgpr_workgroup_id_y 1
		.amdhsa_system_sgpr_workgroup_id_z 0
		.amdhsa_system_sgpr_workgroup_info 0
		.amdhsa_system_vgpr_workitem_id 1
		.amdhsa_next_free_vgpr 31
		.amdhsa_next_free_sgpr 20
		.amdhsa_named_barrier_count 0
		.amdhsa_reserve_vcc 1
		.amdhsa_float_round_mode_32 0
		.amdhsa_float_round_mode_16_64 0
		.amdhsa_float_denorm_mode_32 3
		.amdhsa_float_denorm_mode_16_64 3
		.amdhsa_fp16_overflow 0
		.amdhsa_memory_ordered 1
		.amdhsa_forward_progress 1
		.amdhsa_inst_pref_size 14
		.amdhsa_round_robin_scheduling 0
		.amdhsa_exception_fp_ieee_invalid_op 0
		.amdhsa_exception_fp_denorm_src 0
		.amdhsa_exception_fp_ieee_div_zero 0
		.amdhsa_exception_fp_ieee_overflow 0
		.amdhsa_exception_fp_ieee_underflow 0
		.amdhsa_exception_fp_ieee_inexact 0
		.amdhsa_exception_int_div_zero 0
	.end_amdhsa_kernel
	.text
.Lfunc_end0:
	.size	_Z15winograd_conv2dPKfS0_Pfii, .Lfunc_end0-_Z15winograd_conv2dPKfS0_Pfii
                                        ; -- End function
	.set _Z15winograd_conv2dPKfS0_Pfii.num_vgpr, 31
	.set _Z15winograd_conv2dPKfS0_Pfii.num_agpr, 0
	.set _Z15winograd_conv2dPKfS0_Pfii.numbered_sgpr, 20
	.set _Z15winograd_conv2dPKfS0_Pfii.num_named_barrier, 0
	.set _Z15winograd_conv2dPKfS0_Pfii.private_seg_size, 0
	.set _Z15winograd_conv2dPKfS0_Pfii.uses_vcc, 1
	.set _Z15winograd_conv2dPKfS0_Pfii.uses_flat_scratch, 0
	.set _Z15winograd_conv2dPKfS0_Pfii.has_dyn_sized_stack, 0
	.set _Z15winograd_conv2dPKfS0_Pfii.has_recursion, 0
	.set _Z15winograd_conv2dPKfS0_Pfii.has_indirect_call, 0
	.section	.AMDGPU.csdata,"",@progbits
; Kernel info:
; codeLenInByte = 1704
; TotalNumSgprs: 22
; NumVgprs: 31
; ScratchSize: 0
; MemoryBound: 0
; FloatMode: 240
; IeeeMode: 1
; LDSByteSize: 0 bytes/workgroup (compile time only)
; SGPRBlocks: 0
; VGPRBlocks: 1
; NumSGPRsForWavesPerEU: 22
; NumVGPRsForWavesPerEU: 31
; NamedBarCnt: 0
; Occupancy: 16
; WaveLimiterHint : 0
; COMPUTE_PGM_RSRC2:SCRATCH_EN: 0
; COMPUTE_PGM_RSRC2:USER_SGPR: 2
; COMPUTE_PGM_RSRC2:TRAP_HANDLER: 0
; COMPUTE_PGM_RSRC2:TGID_X_EN: 1
; COMPUTE_PGM_RSRC2:TGID_Y_EN: 1
; COMPUTE_PGM_RSRC2:TGID_Z_EN: 0
; COMPUTE_PGM_RSRC2:TIDIG_COMP_CNT: 1
	.text
	.p2alignl 7, 3214868480
	.fill 96, 4, 3214868480
	.section	.AMDGPU.gpr_maximums,"",@progbits
	.set amdgpu.max_num_vgpr, 0
	.set amdgpu.max_num_agpr, 0
	.set amdgpu.max_num_sgpr, 0
	.text
	.type	__hip_cuid_6b38ba2f0212249f,@object ; @__hip_cuid_6b38ba2f0212249f
	.section	.bss,"aw",@nobits
	.globl	__hip_cuid_6b38ba2f0212249f
__hip_cuid_6b38ba2f0212249f:
	.byte	0                               ; 0x0
	.size	__hip_cuid_6b38ba2f0212249f, 1

	.ident	"AMD clang version 22.0.0git (https://github.com/RadeonOpenCompute/llvm-project roc-7.2.4 26084 f58b06dce1f9c15707c5f808fd002e18c2accf7e)"
	.section	".note.GNU-stack","",@progbits
	.addrsig
	.addrsig_sym __hip_cuid_6b38ba2f0212249f
	.amdgpu_metadata
---
amdhsa.kernels:
  - .args:
      - .actual_access:  read_only
        .address_space:  global
        .offset:         0
        .size:           8
        .value_kind:     global_buffer
      - .actual_access:  read_only
        .address_space:  global
        .offset:         8
        .size:           8
        .value_kind:     global_buffer
      - .actual_access:  write_only
        .address_space:  global
        .offset:         16
        .size:           8
        .value_kind:     global_buffer
      - .offset:         24
        .size:           4
        .value_kind:     by_value
      - .offset:         28
        .size:           4
        .value_kind:     by_value
      - .offset:         32
        .size:           4
        .value_kind:     hidden_block_count_x
      - .offset:         36
        .size:           4
        .value_kind:     hidden_block_count_y
      - .offset:         40
        .size:           4
        .value_kind:     hidden_block_count_z
      - .offset:         44
        .size:           2
        .value_kind:     hidden_group_size_x
      - .offset:         46
        .size:           2
        .value_kind:     hidden_group_size_y
      - .offset:         48
        .size:           2
        .value_kind:     hidden_group_size_z
      - .offset:         50
        .size:           2
        .value_kind:     hidden_remainder_x
      - .offset:         52
        .size:           2
        .value_kind:     hidden_remainder_y
      - .offset:         54
        .size:           2
        .value_kind:     hidden_remainder_z
      - .offset:         72
        .size:           8
        .value_kind:     hidden_global_offset_x
      - .offset:         80
        .size:           8
        .value_kind:     hidden_global_offset_y
      - .offset:         88
        .size:           8
        .value_kind:     hidden_global_offset_z
      - .offset:         96
        .size:           2
        .value_kind:     hidden_grid_dims
    .group_segment_fixed_size: 0
    .kernarg_segment_align: 8
    .kernarg_segment_size: 288
    .language:       OpenCL C
    .language_version:
      - 2
      - 0
    .max_flat_workgroup_size: 1024
    .name:           _Z15winograd_conv2dPKfS0_Pfii
    .private_segment_fixed_size: 0
    .sgpr_count:     22
    .sgpr_spill_count: 0
    .symbol:         _Z15winograd_conv2dPKfS0_Pfii.kd
    .uniform_work_group_size: 1
    .uses_dynamic_stack: false
    .vgpr_count:     31
    .vgpr_spill_count: 0
    .wavefront_size: 32
amdhsa.target:   amdgcn-amd-amdhsa--gfx1250
amdhsa.version:
  - 1
  - 2
...

	.end_amdgpu_metadata
